;; amdgpu-corpus repo=ROCm/rocFFT kind=compiled arch=gfx950 opt=O3
	.text
	.amdgcn_target "amdgcn-amd-amdhsa--gfx950"
	.amdhsa_code_object_version 6
	.protected	fft_rtc_back_len360_factors_10_6_6_wgs_240_tpt_60_halfLds_sp_op_CI_CI_sbrr_dirReg ; -- Begin function fft_rtc_back_len360_factors_10_6_6_wgs_240_tpt_60_halfLds_sp_op_CI_CI_sbrr_dirReg
	.globl	fft_rtc_back_len360_factors_10_6_6_wgs_240_tpt_60_halfLds_sp_op_CI_CI_sbrr_dirReg
	.p2align	8
	.type	fft_rtc_back_len360_factors_10_6_6_wgs_240_tpt_60_halfLds_sp_op_CI_CI_sbrr_dirReg,@function
fft_rtc_back_len360_factors_10_6_6_wgs_240_tpt_60_halfLds_sp_op_CI_CI_sbrr_dirReg: ; @fft_rtc_back_len360_factors_10_6_6_wgs_240_tpt_60_halfLds_sp_op_CI_CI_sbrr_dirReg
; %bb.0:
	s_load_dwordx4 s[12:15], s[0:1], 0x18
	s_load_dwordx4 s[8:11], s[0:1], 0x0
	;; [unrolled: 1-line block ×3, first 2 shown]
	v_mul_u32_u24_e32 v1, 0x445, v0
	v_lshrrev_b32_e32 v25, 16, v1
	s_waitcnt lgkmcnt(0)
	s_load_dwordx2 s[18:19], s[12:13], 0x0
	s_load_dwordx2 s[16:17], s[14:15], 0x0
	v_lshl_add_u32 v8, s2, 2, v25
	v_mov_b32_e32 v6, 0
	v_cmp_lt_u64_e64 s[2:3], s[10:11], 2
	v_mov_b32_e32 v9, v6
	s_and_b64 vcc, exec, s[2:3]
	v_mov_b64_e32 v[18:19], 0
	s_cbranch_vccnz .LBB0_8
; %bb.1:
	s_load_dwordx2 s[2:3], s[0:1], 0x10
	s_add_u32 s20, s14, 8
	s_addc_u32 s21, s15, 0
	s_add_u32 s22, s12, 8
	s_addc_u32 s23, s13, 0
	s_waitcnt lgkmcnt(0)
	s_add_u32 s24, s2, 8
	v_mov_b64_e32 v[18:19], 0
	s_addc_u32 s25, s3, 0
	s_mov_b64 s[26:27], 1
	v_mov_b64_e32 v[2:3], v[18:19]
.LBB0_2:                                ; =>This Inner Loop Header: Depth=1
	s_load_dwordx2 s[28:29], s[24:25], 0x0
                                        ; implicit-def: $vgpr4_vgpr5
	s_waitcnt lgkmcnt(0)
	v_or_b32_e32 v7, s29, v9
	v_cmp_ne_u64_e32 vcc, 0, v[6:7]
	s_and_saveexec_b64 s[2:3], vcc
	s_xor_b64 s[30:31], exec, s[2:3]
	s_cbranch_execz .LBB0_4
; %bb.3:                                ;   in Loop: Header=BB0_2 Depth=1
	v_cvt_f32_u32_e32 v1, s28
	v_cvt_f32_u32_e32 v4, s29
	s_sub_u32 s2, 0, s28
	s_subb_u32 s3, 0, s29
	v_fmac_f32_e32 v1, 0x4f800000, v4
	v_rcp_f32_e32 v1, v1
	s_nop 0
	v_mul_f32_e32 v1, 0x5f7ffffc, v1
	v_mul_f32_e32 v4, 0x2f800000, v1
	v_trunc_f32_e32 v4, v4
	v_fmac_f32_e32 v1, 0xcf800000, v4
	v_cvt_u32_f32_e32 v7, v4
	v_cvt_u32_f32_e32 v1, v1
	v_mul_lo_u32 v4, s2, v7
	v_mul_hi_u32 v10, s2, v1
	v_mul_lo_u32 v5, s3, v1
	v_add_u32_e32 v10, v10, v4
	v_mul_lo_u32 v12, s2, v1
	v_add_u32_e32 v13, v10, v5
	v_mul_hi_u32 v4, v1, v12
	v_mul_hi_u32 v11, v1, v13
	v_mul_lo_u32 v10, v1, v13
	v_mov_b32_e32 v5, v6
	v_lshl_add_u64 v[4:5], v[4:5], 0, v[10:11]
	v_mul_hi_u32 v11, v7, v12
	v_mul_lo_u32 v12, v7, v12
	v_add_co_u32_e32 v4, vcc, v4, v12
	v_mul_hi_u32 v10, v7, v13
	s_nop 0
	v_addc_co_u32_e32 v4, vcc, v5, v11, vcc
	v_mov_b32_e32 v5, v6
	s_nop 0
	v_addc_co_u32_e32 v11, vcc, 0, v10, vcc
	v_mul_lo_u32 v10, v7, v13
	v_lshl_add_u64 v[4:5], v[4:5], 0, v[10:11]
	v_add_co_u32_e32 v1, vcc, v1, v4
	v_mul_lo_u32 v10, s2, v1
	s_nop 0
	v_addc_co_u32_e32 v7, vcc, v7, v5, vcc
	v_mul_lo_u32 v4, s2, v7
	v_mul_hi_u32 v5, s2, v1
	v_add_u32_e32 v4, v5, v4
	v_mul_lo_u32 v5, s3, v1
	v_add_u32_e32 v12, v4, v5
	v_mul_hi_u32 v14, v7, v10
	v_mul_lo_u32 v15, v7, v10
	v_mul_hi_u32 v5, v1, v12
	v_mul_lo_u32 v4, v1, v12
	v_mul_hi_u32 v10, v1, v10
	v_mov_b32_e32 v11, v6
	v_lshl_add_u64 v[4:5], v[10:11], 0, v[4:5]
	v_add_co_u32_e32 v4, vcc, v4, v15
	v_mul_hi_u32 v13, v7, v12
	s_nop 0
	v_addc_co_u32_e32 v4, vcc, v5, v14, vcc
	v_mul_lo_u32 v10, v7, v12
	s_nop 0
	v_addc_co_u32_e32 v11, vcc, 0, v13, vcc
	v_mov_b32_e32 v5, v6
	v_lshl_add_u64 v[4:5], v[4:5], 0, v[10:11]
	v_add_co_u32_e32 v1, vcc, v1, v4
	v_mul_hi_u32 v10, v8, v1
	s_nop 0
	v_addc_co_u32_e32 v7, vcc, v7, v5, vcc
	v_mad_u64_u32 v[4:5], s[2:3], v8, v7, 0
	v_mov_b32_e32 v11, v6
	v_lshl_add_u64 v[4:5], v[10:11], 0, v[4:5]
	v_mad_u64_u32 v[12:13], s[2:3], v9, v1, 0
	v_add_co_u32_e32 v1, vcc, v4, v12
	v_mad_u64_u32 v[10:11], s[2:3], v9, v7, 0
	s_nop 0
	v_addc_co_u32_e32 v4, vcc, v5, v13, vcc
	v_mov_b32_e32 v5, v6
	s_nop 0
	v_addc_co_u32_e32 v11, vcc, 0, v11, vcc
	v_lshl_add_u64 v[4:5], v[4:5], 0, v[10:11]
	v_mul_lo_u32 v1, s29, v4
	v_mul_lo_u32 v7, s28, v5
	v_mad_u64_u32 v[10:11], s[2:3], s28, v4, 0
	v_add3_u32 v1, v11, v7, v1
	v_sub_u32_e32 v7, v9, v1
	v_mov_b32_e32 v11, s29
	v_sub_co_u32_e32 v14, vcc, v8, v10
	v_lshl_add_u64 v[12:13], v[4:5], 0, 1
	s_nop 0
	v_subb_co_u32_e64 v7, s[2:3], v7, v11, vcc
	v_subrev_co_u32_e64 v10, s[2:3], s28, v14
	v_subb_co_u32_e32 v1, vcc, v9, v1, vcc
	s_nop 0
	v_subbrev_co_u32_e64 v7, s[2:3], 0, v7, s[2:3]
	v_cmp_le_u32_e64 s[2:3], s29, v7
	v_cmp_le_u32_e32 vcc, s29, v1
	s_nop 0
	v_cndmask_b32_e64 v11, 0, -1, s[2:3]
	v_cmp_le_u32_e64 s[2:3], s28, v10
	s_nop 1
	v_cndmask_b32_e64 v10, 0, -1, s[2:3]
	v_cmp_eq_u32_e64 s[2:3], s29, v7
	s_nop 1
	v_cndmask_b32_e64 v7, v11, v10, s[2:3]
	v_lshl_add_u64 v[10:11], v[4:5], 0, 2
	v_cmp_ne_u32_e64 s[2:3], 0, v7
	s_nop 1
	v_cndmask_b32_e64 v7, v13, v11, s[2:3]
	v_cndmask_b32_e64 v11, 0, -1, vcc
	v_cmp_le_u32_e32 vcc, s28, v14
	s_nop 1
	v_cndmask_b32_e64 v13, 0, -1, vcc
	v_cmp_eq_u32_e32 vcc, s29, v1
	s_nop 1
	v_cndmask_b32_e32 v1, v11, v13, vcc
	v_cmp_ne_u32_e32 vcc, 0, v1
	v_cndmask_b32_e64 v1, v12, v10, s[2:3]
	s_nop 0
	v_cndmask_b32_e32 v5, v5, v7, vcc
	v_cndmask_b32_e32 v4, v4, v1, vcc
.LBB0_4:                                ;   in Loop: Header=BB0_2 Depth=1
	s_andn2_saveexec_b64 s[2:3], s[30:31]
	s_cbranch_execz .LBB0_6
; %bb.5:                                ;   in Loop: Header=BB0_2 Depth=1
	v_cvt_f32_u32_e32 v1, s28
	s_sub_i32 s30, 0, s28
	v_rcp_iflag_f32_e32 v1, v1
	s_nop 0
	v_mul_f32_e32 v1, 0x4f7ffffe, v1
	v_cvt_u32_f32_e32 v1, v1
	v_mul_lo_u32 v4, s30, v1
	v_mul_hi_u32 v4, v1, v4
	v_add_u32_e32 v1, v1, v4
	v_mul_hi_u32 v1, v8, v1
	v_mul_lo_u32 v4, v1, s28
	v_sub_u32_e32 v4, v8, v4
	v_add_u32_e32 v5, 1, v1
	v_subrev_u32_e32 v7, s28, v4
	v_cmp_le_u32_e32 vcc, s28, v4
	s_nop 1
	v_cndmask_b32_e32 v4, v4, v7, vcc
	v_cndmask_b32_e32 v1, v1, v5, vcc
	v_add_u32_e32 v5, 1, v1
	v_cmp_le_u32_e32 vcc, s28, v4
	s_nop 1
	v_cndmask_b32_e32 v4, v1, v5, vcc
	v_mov_b32_e32 v5, v6
.LBB0_6:                                ;   in Loop: Header=BB0_2 Depth=1
	s_or_b64 exec, exec, s[2:3]
	v_mad_u64_u32 v[10:11], s[2:3], v4, s28, 0
	s_load_dwordx2 s[2:3], s[22:23], 0x0
	v_mul_lo_u32 v1, v5, s28
	v_mul_lo_u32 v7, v4, s29
	s_load_dwordx2 s[28:29], s[20:21], 0x0
	s_add_u32 s26, s26, 1
	v_add3_u32 v1, v11, v7, v1
	v_sub_co_u32_e32 v7, vcc, v8, v10
	s_addc_u32 s27, s27, 0
	s_nop 0
	v_subb_co_u32_e32 v1, vcc, v9, v1, vcc
	s_add_u32 s20, s20, 8
	s_waitcnt lgkmcnt(0)
	v_mul_lo_u32 v8, s2, v1
	v_mul_lo_u32 v9, s3, v7
	v_mad_u64_u32 v[18:19], s[2:3], s2, v7, v[18:19]
	s_addc_u32 s21, s21, 0
	v_add3_u32 v19, v9, v19, v8
	v_mul_lo_u32 v1, s28, v1
	v_mul_lo_u32 v8, s29, v7
	v_mad_u64_u32 v[2:3], s[2:3], s28, v7, v[2:3]
	s_add_u32 s22, s22, 8
	v_add3_u32 v3, v8, v3, v1
	s_addc_u32 s23, s23, 0
	v_mov_b64_e32 v[8:9], s[10:11]
	s_add_u32 s24, s24, 8
	v_cmp_ge_u64_e32 vcc, s[26:27], v[8:9]
	s_addc_u32 s25, s25, 0
	s_cbranch_vccnz .LBB0_9
; %bb.7:                                ;   in Loop: Header=BB0_2 Depth=1
	v_mov_b64_e32 v[8:9], v[4:5]
	s_branch .LBB0_2
.LBB0_8:
	v_mov_b64_e32 v[2:3], v[18:19]
	v_mov_b64_e32 v[4:5], v[8:9]
.LBB0_9:
	s_load_dwordx2 s[0:1], s[0:1], 0x28
	s_lshl_b64 s[20:21], s[10:11], 3
	s_add_u32 s2, s14, s20
	s_addc_u32 s3, s15, s21
	s_load_dwordx2 s[2:3], s[2:3], 0x0
	s_waitcnt lgkmcnt(0)
	v_cmp_gt_u64_e32 vcc, s[0:1], v[4:5]
	s_mov_b32 s0, 0x4444445
	v_mul_hi_u32 v1, v0, s0
	v_mul_u32_u24_e32 v1, 60, v1
	v_sub_u32_e32 v40, v0, v1
	v_mov_b32_e32 v41, 0
                                        ; implicit-def: $vgpr12
                                        ; implicit-def: $vgpr28
                                        ; implicit-def: $vgpr11
                                        ; implicit-def: $vgpr24
                                        ; implicit-def: $vgpr14
                                        ; implicit-def: $vgpr16
                                        ; implicit-def: $vgpr8
                                        ; implicit-def: $vgpr20
                                        ; implicit-def: $vgpr22
                                        ; implicit-def: $vgpr6
                                        ; implicit-def: $vgpr0
                                        ; implicit-def: $vgpr26
	s_and_saveexec_b64 s[10:11], vcc
	s_cbranch_execz .LBB0_13
; %bb.10:
	v_cmp_gt_u32_e64 s[0:1], 36, v40
                                        ; implicit-def: $vgpr27
                                        ; implicit-def: $vgpr1
                                        ; implicit-def: $vgpr7
                                        ; implicit-def: $vgpr23
                                        ; implicit-def: $vgpr21
                                        ; implicit-def: $vgpr9
                                        ; implicit-def: $vgpr17
                                        ; implicit-def: $vgpr15
                                        ; implicit-def: $vgpr24
                                        ; implicit-def: $vgpr11
                                        ; implicit-def: $vgpr28
                                        ; implicit-def: $vgpr12
	s_and_saveexec_b64 s[14:15], s[0:1]
	s_cbranch_execz .LBB0_12
; %bb.11:
	s_add_u32 s0, s12, s20
	s_addc_u32 s1, s13, s21
	s_load_dwordx2 s[0:1], s[0:1], 0x0
	v_add_u32_e32 v13, 0xb4, v40
	v_add_u32_e32 v15, 0xfc, v40
	;; [unrolled: 1-line block ×3, first 2 shown]
	s_waitcnt lgkmcnt(0)
	v_mul_lo_u32 v6, s1, v4
	v_mul_lo_u32 v7, s0, v5
	v_mad_u64_u32 v[0:1], s[0:1], s0, v4, 0
	v_add3_u32 v1, v1, v7, v6
	v_mad_u64_u32 v[6:7], s[0:1], s18, v40, 0
	v_mov_b32_e32 v8, v7
	v_mad_u64_u32 v[8:9], s[0:1], s19, v40, v[8:9]
	v_lshl_add_u64 v[0:1], v[0:1], 3, s[4:5]
	v_mov_b32_e32 v7, v8
	v_lshl_add_u64 v[8:9], v[18:19], 3, v[0:1]
	v_lshl_add_u64 v[0:1], v[6:7], 3, v[8:9]
	v_add_u32_e32 v7, 36, v40
	global_load_dwordx2 v[28:29], v[0:1], off
	v_mad_u64_u32 v[0:1], s[0:1], s18, v7, 0
	v_mov_b32_e32 v6, v1
	v_mad_u64_u32 v[6:7], s[0:1], s19, v7, v[6:7]
	v_mov_b32_e32 v1, v6
	v_add_u32_e32 v7, 0x48, v40
	v_lshl_add_u64 v[18:19], v[0:1], 3, v[8:9]
	v_mad_u64_u32 v[0:1], s[0:1], s18, v7, 0
	v_mov_b32_e32 v6, v1
	v_mad_u64_u32 v[6:7], s[0:1], s19, v7, v[6:7]
	v_mov_b32_e32 v1, v6
	v_add_u32_e32 v7, 0x6c, v40
	v_lshl_add_u64 v[22:23], v[0:1], 3, v[8:9]
	v_mad_u64_u32 v[0:1], s[0:1], s18, v7, 0
	v_mov_b32_e32 v6, v1
	v_mad_u64_u32 v[6:7], s[0:1], s19, v7, v[6:7]
	v_mov_b32_e32 v1, v6
	v_lshl_add_u64 v[0:1], v[0:1], 3, v[8:9]
	v_add_u32_e32 v7, 0x90, v40
	global_load_dwordx2 v[10:11], v[0:1], off
	v_mad_u64_u32 v[0:1], s[0:1], s18, v7, 0
	v_mov_b32_e32 v6, v1
	v_mad_u64_u32 v[6:7], s[0:1], s19, v7, v[6:7]
	v_mov_b32_e32 v1, v6
	v_lshl_add_u64 v[0:1], v[0:1], 3, v[8:9]
	global_load_dwordx2 v[6:7], v[0:1], off
	v_mad_u64_u32 v[0:1], s[0:1], s18, v13, 0
	v_mov_b32_e32 v12, v1
	v_mad_u64_u32 v[12:13], s[0:1], s19, v13, v[12:13]
	v_mov_b32_e32 v1, v12
	v_add_u32_e32 v13, 0xd8, v40
	v_lshl_add_u64 v[26:27], v[0:1], 3, v[8:9]
	v_mad_u64_u32 v[0:1], s[0:1], s18, v13, 0
	v_mov_b32_e32 v12, v1
	v_mad_u64_u32 v[12:13], s[0:1], s19, v13, v[12:13]
	v_mov_b32_e32 v1, v12
	;; [unrolled: 2-line block ×4, first 2 shown]
	v_add_u32_e32 v15, 0x120, v40
	v_lshl_add_u64 v[30:31], v[12:13], 3, v[8:9]
	v_mad_u64_u32 v[12:13], s[0:1], s18, v15, 0
	v_mov_b32_e32 v14, v13
	v_mad_u64_u32 v[14:15], s[0:1], s19, v15, v[14:15]
	v_mov_b32_e32 v13, v14
	v_lshl_add_u64 v[0:1], v[0:1], 3, v[8:9]
	v_lshl_add_u64 v[12:13], v[12:13], 3, v[8:9]
	global_load_dwordx2 v[0:1], v[0:1], off
	v_mad_u64_u32 v[14:15], s[0:1], s18, v17, 0
	global_load_dwordx2 v[12:13], v[12:13], off
	v_mov_b32_e32 v16, v15
	v_mad_u64_u32 v[16:17], s[0:1], s19, v17, v[16:17]
	v_mov_b32_e32 v15, v16
	v_lshl_add_u64 v[32:33], v[14:15], 3, v[8:9]
	global_load_dwordx2 v[34:35], v[22:23], off
	global_load_dwordx2 v[20:21], v[18:19], off
	;; [unrolled: 1-line block ×5, first 2 shown]
	s_waitcnt vmcnt(9)
	v_mov_b32_e32 v24, v29
	s_waitcnt vmcnt(8)
	v_mov_b32_e32 v22, v10
	;; [unrolled: 2-line block ×6, first 2 shown]
	v_mov_b32_e32 v23, v34
.LBB0_12:
	s_or_b64 exec, exec, s[14:15]
	v_mov_b32_e32 v41, v40
.LBB0_13:
	s_or_b64 exec, exec, s[10:11]
	v_and_b32_e32 v10, 3, v25
	v_mul_u32_u24_e32 v13, 0x168, v10
	v_mov_b32_e32 v10, v22
	s_waitcnt vmcnt(0)
	v_pk_add_f32 v[36:37], v[10:11], v[16:17] neg_lo:[0,1] neg_hi:[0,1]
	v_pk_add_f32 v[30:31], v[14:15], v[8:9]
	s_mov_b32 s14, 0x3f737871
	v_pk_add_f32 v[32:33], v[8:9], v[14:15] neg_lo:[0,1] neg_hi:[0,1]
	v_pk_fma_f32 v[30:31], v[30:31], 0.5, v[20:21] op_sel_hi:[1,0,1] neg_lo:[1,0,0] neg_hi:[1,0,0]
	s_mov_b32 s12, 0x3f167918
	v_pk_add_f32 v[44:45], v[10:11], v[8:9] neg_lo:[0,1] neg_hi:[0,1]
	v_pk_add_f32 v[46:47], v[16:17], v[14:15] neg_lo:[0,1] neg_hi:[0,1]
	v_pk_mul_f32 v[50:51], v[36:37], s[14:15] op_sel_hi:[1,0]
	v_pk_mul_f32 v[42:43], v[32:33], s[12:13] op_sel_hi:[1,0]
	v_pk_add_f32 v[44:45], v[46:47], v[44:45]
	s_mov_b32 s10, 0x3e9e377a
	v_pk_add_f32 v[52:53], v[30:31], v[50:51] op_sel:[0,1] op_sel_hi:[1,0] neg_lo:[0,1] neg_hi:[0,1]
	v_pk_add_f32 v[30:31], v[50:51], v[30:31] op_sel:[1,0] op_sel_hi:[0,1]
	v_pk_mul_f32 v[46:47], v[44:45], s[10:11] op_sel_hi:[1,0]
	v_pk_add_f32 v[52:53], v[52:53], v[42:43] op_sel:[0,1] op_sel_hi:[1,0] neg_lo:[0,1] neg_hi:[0,1]
	v_pk_add_f32 v[30:31], v[42:43], v[30:31] op_sel:[1,0] op_sel_hi:[0,1]
	v_add_f32_e32 v42, v47, v31
	v_mov_b32_e32 v31, v53
	v_pk_fma_f32 v[30:31], v[44:45], s[10:11], v[30:31] op_sel_hi:[1,0,1]
	v_pk_add_f32 v[44:45], v[16:17], v[10:11]
	v_mov_b32_e32 v49, v46
	v_pk_fma_f32 v[44:45], v[44:45], 0.5, v[20:21] op_sel_hi:[1,0,1] neg_lo:[1,0,0] neg_hi:[1,0,0]
	v_pk_mul_f32 v[46:47], v[32:33], s[14:15] op_sel_hi:[1,0]
	v_pk_add_f32 v[18:19], v[6:7], v[24:25] op_sel_hi:[1,0]
	v_pk_add_f32 v[34:35], v[14:15], v[16:17] neg_lo:[0,1] neg_hi:[0,1]
	v_pk_add_f32 v[32:33], v[44:45], v[46:47] op_sel:[0,1] op_sel_hi:[1,0] neg_lo:[0,1] neg_hi:[0,1]
	v_pk_mul_f32 v[36:37], v[36:37], s[12:13] op_sel_hi:[1,0]
	v_pk_add_f32 v[50:51], v[8:9], v[10:11] neg_lo:[0,1] neg_hi:[0,1]
	v_pk_add_f32 v[44:45], v[46:47], v[44:45] op_sel:[1,0] op_sel_hi:[0,1]
	v_mov_b32_e32 v48, v7
	v_pk_add_f32 v[32:33], v[36:37], v[32:33] op_sel:[1,0] op_sel_hi:[0,1]
	v_pk_add_f32 v[34:35], v[34:35], v[50:51]
	v_pk_add_f32 v[36:37], v[44:45], v[36:37] op_sel:[0,1] op_sel_hi:[1,0] neg_lo:[0,1] neg_hi:[0,1]
	v_mov_b32_e32 v19, v52
	v_mov_b32_e32 v38, v27
	;; [unrolled: 1-line block ×3, first 2 shown]
	v_pk_fma_f32 v[32:33], v[34:35], s[10:11], v[32:33] op_sel_hi:[1,0,1]
	v_pk_fma_f32 v[34:35], v[34:35], s[10:11], v[36:37] op_sel_hi:[1,0,1]
	v_pk_add_f32 v[36:37], v[48:49], v[18:19]
	v_cmp_gt_u32_e64 s[0:1], 36, v40
	v_lshlrev_b32_e32 v10, 2, v13
	s_and_saveexec_b64 s[4:5], s[0:1]
	s_cbranch_execz .LBB0_15
; %bb.14:
	v_add_f32_e32 v13, v26, v38
	v_fma_f32 v44, -0.5, v13, v28
	v_mov_b32_e32 v13, v23
	v_pk_add_f32 v[52:53], v[26:27], v[12:13] neg_lo:[0,1] neg_hi:[0,1]
	s_mov_b32 s18, 0xbf4f1bbd
	s_mov_b32 s19, s12
	v_add_f32_e32 v13, v52, v53
	v_pk_add_f32 v[46:47], v[6:7], v[0:1] neg_lo:[0,1] neg_hi:[0,1]
	s_mov_b32 s15, s12
	v_pk_mul_f32 v[50:51], v[30:31], s[18:19]
	v_mul_f32_e32 v52, 0x3e9e377a, v13
	v_add_f32_e32 v13, v12, v23
	s_mov_b32 s13, s14
	v_sub_f32_e32 v19, v12, v26
	v_pk_mul_f32 v[48:49], v[46:47], s[14:15]
	v_mov_b32_e32 v18, v51
	v_fma_f32 v13, -0.5, v13, v28
	v_pk_mul_f32 v[46:47], v[46:47], s[12:13]
	v_pk_fma_f32 v[50:51], v[30:31], s[18:19], v[18:19] neg_lo:[0,0,1] neg_hi:[0,0,1]
	v_sub_f32_e32 v18, v13, v47
	v_pk_add_f32 v[56:57], v[22:23], v[20:21]
	v_pk_add_f32 v[58:59], v[22:23], v[26:27] neg_lo:[0,1] neg_hi:[0,1]
	v_add_f32_e32 v55, v46, v18
	v_mov_b32_e32 v57, v59
	v_mov_b32_e32 v18, v8
	v_add_f32_e32 v13, v47, v13
	v_pk_add_f32 v[18:19], v[18:19], v[56:57]
	v_mov_b32_e32 v57, 0x3e9e377a
	v_mov_b32_e32 v56, v14
	v_sub_f32_e32 v54, v13, v46
	v_sub_f32_e32 v13, v44, v48
	v_pk_add_f32 v[58:59], v[14:15], v[18:19]
	v_pk_mul_f32 v[18:19], v[56:57], v[18:19]
	v_sub_f32_e32 v29, v13, v49
	v_add_f32_e32 v45, v23, v28
	v_mov_b32_e32 v59, v19
	v_mov_b32_e32 v28, v16
	v_pk_add_f32 v[28:29], v[28:29], v[58:59]
	v_mov_b32_e32 v58, v48
	v_mov_b32_e32 v59, v27
	v_pk_add_f32 v[44:45], v[58:59], v[44:45]
	v_mov_b32_e32 v48, v49
	v_mov_b32_e32 v49, v26
	v_mul_f32_e32 v13, 0x3f167918, v42
	s_mov_b32 s11, 0x3f4f1bbd
	v_mov_b32_e32 v56, v33
	v_mov_b32_e32 v57, v35
	s_mov_b32 s12, 0xbf737871
	v_pk_add_f32 v[44:45], v[48:49], v[44:45]
	v_mov_b32_e32 v18, v19
	v_mov_b32_e32 v19, v12
	v_fma_f32 v47, v37, s11, -v13
	v_mul_u32_u24_e32 v13, 40, v40
	v_pk_add_f32 v[52:53], v[52:53], v[54:55] op_sel_hi:[0,1]
	v_mov_b32_e32 v54, v34
	v_mov_b32_e32 v55, v32
	s_mov_b32 s11, 0xbe9e377a
	v_pk_mul_f32 v[56:57], v[56:57], s[12:13] op_sel_hi:[1,0]
	v_pk_add_f32 v[18:19], v[18:19], v[44:45]
	v_add3_u32 v25, 0, v13, v10
	v_pk_fma_f32 v[54:55], v[54:55], s[10:11], v[56:57]
	v_mov_b32_e32 v13, v28
	v_mov_b32_e32 v46, v19
	v_pk_add_f32 v[44:45], v[18:19], v[50:51]
	v_pk_add_f32 v[48:49], v[18:19], v[12:13] neg_lo:[0,1] neg_hi:[0,1]
	v_pk_add_f32 v[58:59], v[28:29], v[46:47]
	v_mov_b32_e32 v28, v29
	v_mov_b32_e32 v29, v52
	;; [unrolled: 1-line block ×4, first 2 shown]
	v_pk_add_f32 v[28:29], v[28:29], v[46:47] neg_lo:[0,1] neg_hi:[0,1]
	v_mov_b32_e32 v45, v49
	ds_write2_b64 v25, v[44:45], v[28:29] offset0:2 offset1:3
	v_mov_b32_e32 v28, v53
	v_mov_b32_e32 v29, v18
	;; [unrolled: 1-line block ×4, first 2 shown]
	v_pk_add_f32 v[56:57], v[52:53], v[54:55]
	v_pk_add_f32 v[18:19], v[28:29], v[18:19] neg_lo:[0,1] neg_hi:[0,1]
	ds_write2_b64 v25, v[58:59], v[56:57] offset1:1
	ds_write_b64 v25, v[18:19] offset:32
.LBB0_15:
	s_or_b64 exec, exec, s[4:5]
	v_lshlrev_b32_e32 v8, 2, v40
	v_add_u32_e32 v20, 0, v8
	v_add_u32_e32 v14, v20, v10
	s_waitcnt lgkmcnt(0)
	s_barrier
	v_add3_u32 v13, 0, v10, v8
	ds_read2_b32 v[28:29], v14 offset0:60 offset1:120
	ds_read2_b32 v[18:19], v14 offset0:180 offset1:240
	ds_read_b32 v8, v13
	ds_read_b32 v16, v14 offset:1200
	s_waitcnt lgkmcnt(0)
	s_barrier
	s_and_saveexec_b64 s[4:5], s[0:1]
	s_cbranch_execz .LBB0_17
; %bb.16:
	v_pk_add_f32 v[46:47], v[0:1], v[6:7]
	v_pk_add_f32 v[26:27], v[38:39], v[26:27] neg_lo:[0,1] neg_hi:[0,1]
	v_mov_b32_e32 v38, v0
	v_mov_b32_e32 v39, v6
	;; [unrolled: 1-line block ×3, first 2 shown]
	v_pk_add_f32 v[48:49], v[38:39], v[6:7] neg_lo:[0,1] neg_hi:[0,1]
	s_mov_b32 s0, 0x3e9e377a
	v_mov_b32_e32 v22, v49
	v_pk_add_f32 v[48:49], v[48:49], v[22:23]
	v_mul_f32_e32 v22, 0.5, v46
	v_mov_b32_e32 v25, v23
	v_mov_b32_e32 v23, v12
	s_mov_b32 s1, 0x3f167918
	v_pk_add_f32 v[22:23], v[24:25], v[22:23] neg_lo:[0,1] neg_hi:[0,1]
	v_mov_b32_e32 v49, v26
	v_mul_f32_e32 v50, 0x3f737871, v26
	v_fmamk_f32 v25, v26, 0xbf737871, v22
	v_mov_b32_e32 v51, 0x3f167918
	v_pk_mul_f32 v[26:27], v[22:23], s[0:1]
	v_mov_b32_e32 v44, v11
	v_mov_b32_e32 v45, v24
	v_mul_f32_e32 v47, 0.5, v47
	v_pk_add_f32 v[6:7], v[6:7], v[38:39] neg_lo:[0,1] neg_hi:[0,1]
	v_mov_b32_e32 v46, v21
	v_pk_add_f32 v[54:55], v[22:23], v[50:51]
	v_mov_b32_e32 v24, v27
	v_add_f32_e32 v6, v6, v7
	v_pk_add_f32 v[38:39], v[44:45], v[46:47]
	v_pk_add_f32 v[44:45], v[44:45], v[46:47] neg_lo:[0,1] neg_hi:[0,1]
	v_pk_fma_f32 v[26:27], v[22:23], v[50:51], v[24:25]
	v_pk_add_f32 v[24:25], v[54:55], v[24:25] neg_lo:[0,1] neg_hi:[0,1]
	v_pk_mul_f32 v[48:49], v[48:49], s[0:1]
	v_mul_f32_e32 v6, 0x3e9e377a, v6
	v_mov_b32_e32 v39, v45
	v_mul_f32_e32 v7, 0x3f737871, v23
	v_mov_b32_e32 v25, v27
	v_fmac_f32_e32 v45, 0xbf737871, v23
	v_pk_add_f32 v[24:25], v[6:7], v[24:25] op_sel_hi:[0,1]
	v_sub_f32_e32 v6, v45, v49
	v_mov_b32_e32 v44, v1
	v_add_f32_e32 v22, v48, v6
	v_mov_b32_e32 v6, v9
	s_mov_b32 s10, 0x3f737871
	v_mov_b32_e32 v46, v15
	v_mov_b32_e32 v47, v49
	v_pk_add_f32 v[6:7], v[6:7], v[38:39]
	v_pk_add_f32 v[26:27], v[44:45], v[36:37]
	v_pk_mul_f32 v[36:37], v[36:37], s[0:1]
	s_mov_b32 s11, s0
	v_mov_b32_e32 v52, v17
	v_mov_b32_e32 v53, v48
	v_mul_f32_e32 v1, 0x3f4f1bbd, v42
	v_pk_add_f32 v[6:7], v[46:47], v[6:7]
	v_mov_b32_e32 v27, v37
	v_pk_mul_f32 v[34:35], v[34:35], s[10:11]
	v_pk_add_f32 v[6:7], v[52:53], v[6:7]
	v_pk_add_f32 v[0:1], v[0:1], v[26:27]
	v_pk_fma_f32 v[36:37], v[32:33], s[10:11], v[34:35] op_sel:[0,0,1] op_sel_hi:[1,1,0]
	v_pk_fma_f32 v[32:33], v[32:33], s[10:11], v[34:35] op_sel:[0,0,1] op_sel_hi:[1,1,0] neg_lo:[0,0,1] neg_hi:[0,0,1]
	v_mul_f32_e32 v9, 0x3f4f1bbd, v31
	v_mov_b32_e32 v33, v37
	v_fma_f32 v30, v30, s1, -v9
	v_mov_b32_e32 v23, v0
	v_mov_b32_e32 v31, v6
	v_pk_add_f32 v[26:27], v[6:7], v[0:1]
	v_pk_add_f32 v[34:35], v[24:25], v[32:33]
	;; [unrolled: 1-line block ×3, first 2 shown]
	v_pk_add_f32 v[42:43], v[22:23], v[30:31] neg_lo:[0,1] neg_hi:[0,1]
	v_mov_b32_e32 v6, v7
	v_mov_b32_e32 v7, v25
	;; [unrolled: 1-line block ×3, first 2 shown]
	v_mul_u32_u24_e32 v9, 36, v40
	v_pk_add_f32 v[0:1], v[6:7], v[36:37] neg_lo:[0,1] neg_hi:[0,1]
	v_mov_b32_e32 v25, v22
	v_mov_b32_e32 v33, v30
	v_add3_u32 v9, v20, v9, v10
	v_mov_b32_e32 v20, v35
	v_mov_b32_e32 v21, v34
	;; [unrolled: 1-line block ×3, first 2 shown]
	v_pk_add_f32 v[6:7], v[24:25], v[32:33] neg_lo:[0,1] neg_hi:[0,1]
	ds_write2_b64 v9, v[26:27], v[20:21] offset1:1
	ds_write2_b64 v9, v[38:39], v[0:1] offset0:2 offset1:3
	ds_write_b64 v9, v[6:7] offset:32
.LBB0_17:
	s_or_b64 exec, exec, s[4:5]
	s_movk_i32 s0, 0xcd
	v_mul_lo_u16_sdwa v0, v40, s0 dst_sel:DWORD dst_unused:UNUSED_PAD src0_sel:BYTE_0 src1_sel:DWORD
	v_lshrrev_b16_e32 v9, 11, v0
	v_mul_lo_u16_e32 v0, 10, v9
	v_sub_u16_e32 v11, v40, v0
	v_mov_b32_e32 v0, 5
	v_mul_u32_u24_sdwa v0, v11, v0 dst_sel:DWORD dst_unused:UNUSED_PAD src0_sel:BYTE_0 src1_sel:DWORD
	v_lshlrev_b32_e32 v6, 3, v0
	s_waitcnt lgkmcnt(0)
	s_barrier
	global_load_dwordx4 v[20:23], v6, s[8:9]
	global_load_dwordx4 v[24:27], v6, s[8:9] offset:16
	global_load_dwordx2 v[0:1], v6, s[8:9] offset:32
	ds_read2_b32 v[6:7], v14 offset0:60 offset1:120
	ds_read2_b32 v[30:31], v14 offset0:180 offset1:240
	ds_read_b32 v12, v13
	ds_read_b32 v15, v14 offset:1200
	s_movk_i32 s1, 0xf0
	v_mov_b32_e32 v17, 2
	v_mad_u32_u24 v9, v9, s1, 0
	s_waitcnt lgkmcnt(0)
	s_barrier
	s_mov_b32 s0, -0.5
	s_mov_b32 s4, 0xbf5db3d7
	s_mov_b32 s10, 0x3f5db3d7
	s_waitcnt vmcnt(2)
	v_mul_f32_e32 v32, v6, v21
	v_mul_f32_e32 v21, v28, v21
	s_waitcnt vmcnt(1)
	v_mul_f32_e32 v34, v30, v25
	v_mul_f32_e32 v25, v18, v25
	;; [unrolled: 3-line block ×3, first 2 shown]
	v_mul_f32_e32 v33, v7, v23
	v_mul_f32_e32 v23, v29, v23
	;; [unrolled: 1-line block ×4, first 2 shown]
	v_fma_f32 v6, v6, v20, -v21
	v_fmac_f32_e32 v34, v18, v24
	v_fma_f32 v18, v30, v24, -v25
	v_fmac_f32_e32 v36, v16, v0
	;; [unrolled: 2-line block ×3, first 2 shown]
	v_fmac_f32_e32 v33, v29, v22
	v_fma_f32 v7, v7, v22, -v23
	v_fmac_f32_e32 v35, v19, v26
	v_fma_f32 v19, v31, v26, -v27
	v_sub_f32_e32 v24, v18, v0
	v_add_f32_e32 v25, v6, v18
	v_add_f32_e32 v18, v18, v0
	;; [unrolled: 1-line block ×4, first 2 shown]
	v_sub_f32_e32 v16, v7, v19
	v_add_f32_e32 v20, v12, v7
	v_add_f32_e32 v7, v7, v19
	;; [unrolled: 1-line block ×4, first 2 shown]
	v_sub_f32_e32 v26, v34, v36
	v_fmac_f32_e32 v6, -0.5, v18
	v_sub_f32_e32 v21, v33, v35
	v_add_f32_e32 v1, v1, v35
	v_fmac_f32_e32 v8, -0.5, v15
	v_add_f32_e32 v15, v20, v19
	v_fmac_f32_e32 v12, -0.5, v7
	;; [unrolled: 2-line block ×3, first 2 shown]
	v_fmamk_f32 v20, v26, 0x3f5db3d7, v6
	v_fmac_f32_e32 v6, 0xbf5db3d7, v26
	v_add_f32_e32 v0, v25, v0
	v_fmamk_f32 v18, v16, 0xbf5db3d7, v8
	v_fmac_f32_e32 v8, 0x3f5db3d7, v16
	v_fmamk_f32 v16, v21, 0x3f5db3d7, v12
	v_fmac_f32_e32 v12, 0xbf5db3d7, v21
	;; [unrolled: 2-line block ×3, first 2 shown]
	v_add_f32_e32 v21, v1, v7
	v_sub_f32_e32 v1, v1, v7
	v_mul_f32_e32 v7, 0xbf5db3d7, v6
	v_mul_f32_e32 v6, -0.5, v6
	v_add_f32_e32 v22, v15, v0
	v_sub_f32_e32 v15, v15, v0
	v_mul_f32_e32 v0, 0xbf5db3d7, v20
	v_fmac_f32_e32 v6, 0x3f5db3d7, v32
	v_mul_f32_e32 v20, 0.5, v20
	v_fmac_f32_e32 v0, 0.5, v19
	v_fmac_f32_e32 v7, -0.5, v32
	v_add_f32_e32 v25, v12, v6
	v_sub_f32_e32 v12, v12, v6
	v_lshlrev_b32_sdwa v6, v17, v11 dst_sel:DWORD dst_unused:UNUSED_PAD src0_sel:DWORD src1_sel:BYTE_0
	v_fmac_f32_e32 v20, 0x3f5db3d7, v19
	v_add_f32_e32 v19, v18, v0
	v_add_f32_e32 v23, v8, v7
	v_sub_f32_e32 v0, v18, v0
	v_sub_f32_e32 v7, v8, v7
	v_add3_u32 v9, v9, v6, v10
	ds_write2_b32 v9, v21, v19 offset1:10
	ds_write2_b32 v9, v23, v1 offset0:20 offset1:30
	ds_write2_b32 v9, v0, v7 offset0:40 offset1:50
	s_waitcnt lgkmcnt(0)
	s_barrier
	ds_read2_b32 v[6:7], v14 offset0:60 offset1:120
	ds_read2_b32 v[10:11], v14 offset0:180 offset1:240
	ds_read_b32 v0, v13
	ds_read_b32 v8, v14 offset:1200
	v_add_f32_e32 v24, v16, v20
	v_sub_f32_e32 v16, v16, v20
	s_waitcnt lgkmcnt(0)
	s_barrier
	ds_write2_b32 v9, v22, v24 offset1:10
	ds_write2_b32 v9, v25, v15 offset0:20 offset1:30
	ds_write2_b32 v9, v16, v12 offset0:40 offset1:50
	s_waitcnt lgkmcnt(0)
	s_barrier
	s_and_saveexec_b64 s[12:13], vcc
	s_cbranch_execz .LBB0_19
; %bb.18:
	v_mul_u32_u24_e32 v1, 5, v40
	v_lshlrev_b32_e32 v1, 3, v1
	global_load_dwordx4 v[16:19], v1, s[8:9] offset:400
	global_load_dwordx4 v[20:23], v1, s[8:9] offset:416
	global_load_dwordx2 v[26:27], v1, s[8:9] offset:432
	v_mul_lo_u32 v9, s3, v4
	v_mul_lo_u32 v31, s2, v5
	v_mad_u64_u32 v[4:5], s[2:3], s2, v4, 0
	ds_read2_b32 v[24:25], v14 offset0:60 offset1:120
	ds_read2_b32 v[28:29], v14 offset0:180 offset1:240
	ds_read_b32 v1, v13
	ds_read_b32 v12, v14 offset:1200
	v_mad_u64_u32 v[14:15], s[2:3], s16, v41, 0
	v_add_u32_e32 v33, 0x78, v41
	v_add_u32_e32 v35, 0xb4, v41
	v_mov_b32_e32 v38, v15
	v_add_u32_e32 v13, 60, v41
	v_mad_u64_u32 v[44:45], s[2:3], s16, v33, 0
	v_mad_u64_u32 v[46:47], s[2:3], s16, v35, 0
	;; [unrolled: 1-line block ×3, first 2 shown]
	v_add3_u32 v5, v5, v31, v9
	v_mad_u64_u32 v[42:43], s[2:3], s16, v13, 0
	v_mov_b32_e32 v52, v45
	v_mov_b32_e32 v15, v38
	;; [unrolled: 1-line block ×3, first 2 shown]
	v_lshl_add_u64 v[4:5], v[4:5], 3, s[6:7]
	v_mov_b32_e32 v40, v43
	v_mad_u64_u32 v[52:53], s[2:3], s17, v33, v[52:53]
	v_mad_u64_u32 v[38:39], s[2:3], s17, v35, v[38:39]
	v_add_u32_e32 v37, 0xf0, v41
	v_add_u32_e32 v55, 0x12c, v41
	v_lshl_add_u64 v[2:3], v[2:3], 3, v[4:5]
	v_mad_u64_u32 v[40:41], s[2:3], s17, v13, v[40:41]
	v_mov_b32_e32 v45, v52
	v_mov_b32_e32 v47, v38
	;; [unrolled: 1-line block ×3, first 2 shown]
	v_lshl_add_u64 v[38:39], v[44:45], 3, v[2:3]
	v_lshl_add_u64 v[40:41], v[46:47], 3, v[2:3]
	s_waitcnt lgkmcnt(3)
	v_mov_b32_e32 v44, v25
	s_waitcnt lgkmcnt(2)
	v_mov_b32_e32 v46, v29
	v_mov_b32_e32 v30, v7
	;; [unrolled: 1-line block ×5, first 2 shown]
	v_mad_u64_u32 v[48:49], s[2:3], s16, v37, 0
	v_mad_u64_u32 v[50:51], s[2:3], s16, v55, 0
	s_mov_b32 s5, s0
	v_mov_b32_e32 v4, v49
	v_mov_b32_e32 v54, v51
	s_mov_b32 s1, s10
	v_mad_u64_u32 v[4:5], s[2:3], s17, v37, v[4:5]
	v_mad_u64_u32 v[54:55], s[2:3], s17, v55, v[54:55]
	v_lshl_add_u64 v[14:15], v[14:15], 3, v[2:3]
	v_mov_b32_e32 v49, v4
	v_mov_b32_e32 v51, v54
	v_lshl_add_u64 v[4:5], v[42:43], 3, v[2:3]
	v_lshl_add_u64 v[42:43], v[48:49], 3, v[2:3]
	;; [unrolled: 1-line block ×3, first 2 shown]
	s_waitcnt vmcnt(2)
	v_pk_mul_f32 v[44:45], v[44:45], v[18:19] op_sel_hi:[0,1]
	s_waitcnt vmcnt(1)
	v_pk_mul_f32 v[46:47], v[46:47], v[22:23] op_sel_hi:[0,1]
	v_pk_mul_f32 v[28:29], v[28:29], v[20:21] op_sel_hi:[0,1]
	v_pk_fma_f32 v[30:31], v[30:31], v[18:19], v[44:45] op_sel:[0,0,1] op_sel_hi:[1,1,0]
	v_pk_fma_f32 v[18:19], v[32:33], v[18:19], v[44:45] op_sel:[0,0,1] op_sel_hi:[0,1,0] neg_lo:[1,0,0] neg_hi:[1,0,0]
	v_pk_fma_f32 v[32:33], v[34:35], v[22:23], v[46:47] op_sel:[0,0,1] op_sel_hi:[1,1,0]
	v_pk_fma_f32 v[22:23], v[36:37], v[22:23], v[46:47] op_sel:[0,0,1] op_sel_hi:[0,1,0] neg_lo:[1,0,0] neg_hi:[1,0,0]
	;; [unrolled: 2-line block ×3, first 2 shown]
	v_mov_b32_e32 v31, v19
	v_mov_b32_e32 v33, v23
	s_waitcnt vmcnt(0) lgkmcnt(0)
	v_pk_mul_f32 v[12:13], v[12:13], v[26:27] op_sel_hi:[0,1]
	v_mov_b32_e32 v35, v11
	v_pk_add_f32 v[10:11], v[30:31], v[32:33]
	v_pk_add_f32 v[18:19], v[30:31], v[32:33] neg_lo:[0,1] neg_hi:[0,1]
	v_pk_fma_f32 v[22:23], v[8:9], v[26:27], v[12:13] op_sel:[0,0,1] op_sel_hi:[1,1,0]
	v_pk_fma_f32 v[8:9], v[8:9], v[26:27], v[12:13] op_sel:[0,0,1] op_sel_hi:[0,1,0] neg_lo:[1,0,0] neg_hi:[1,0,0]
	v_pk_fma_f32 v[10:11], -0.5, v[10:11], v[0:1] op_sel_hi:[0,1,1]
	v_pk_mul_f32 v[18:19], v[18:19], s[10:11] op_sel_hi:[1,0]
	v_mov_b32_e32 v23, v9
	v_pk_mul_f32 v[12:13], v[24:25], v[16:17] op_sel_hi:[0,1]
	v_pk_add_f32 v[20:21], v[18:19], v[10:11] op_sel:[1,0] op_sel_hi:[0,1]
	v_pk_add_f32 v[10:11], v[10:11], v[18:19] op_sel:[0,1] op_sel_hi:[1,0] neg_lo:[0,1] neg_hi:[0,1]
	v_pk_add_f32 v[8:9], v[34:35], v[22:23]
	v_pk_fma_f32 v[24:25], v[6:7], v[16:17], v[12:13] op_sel:[0,0,1] op_sel_hi:[0,1,0]
	v_pk_fma_f32 v[6:7], v[6:7], v[16:17], v[12:13] op_sel:[0,0,1] op_sel_hi:[0,1,0] neg_lo:[1,0,0] neg_hi:[1,0,0]
	v_mov_b32_e32 v19, v11
	v_mov_b32_e32 v25, v7
	;; [unrolled: 1-line block ×3, first 2 shown]
	v_pk_add_f32 v[12:13], v[34:35], v[22:23] neg_lo:[0,1] neg_hi:[0,1]
	v_fmac_f32_e32 v7, -0.5, v9
	v_fmac_f32_e32 v11, -0.5, v8
	v_fmamk_f32 v8, v12, 0xbf5db3d7, v7
	v_fmac_f32_e32 v7, 0x3f5db3d7, v12
	v_mov_b32_e32 v18, v20
	v_fmamk_f32 v6, v13, 0x3f5db3d7, v11
	v_fmac_f32_e32 v11, 0xbf5db3d7, v13
	v_mul_f32_e32 v20, 0.5, v7
	v_fmac_f32_e32 v20, 0x3f5db3d7, v11
	v_pk_add_f32 v[12:13], v[24:25], v[34:35]
	v_pk_add_f32 v[0:1], v[0:1], v[30:31]
	v_mul_f32_e32 v26, 0xbf5db3d7, v7
	v_pk_add_f32 v[12:13], v[12:13], v[22:23]
	v_sub_f32_e32 v7, v21, v20
	v_pk_mul_f32 v[8:9], v[8:9], s[4:5] op_sel_hi:[0,1]
	v_pk_add_f32 v[0:1], v[0:1], v[32:33]
	v_fmac_f32_e32 v26, 0.5, v11
	v_pk_fma_f32 v[8:9], v[6:7], s[0:1], v[8:9] op_sel_hi:[0,1,1]
	v_pk_add_f32 v[22:23], v[0:1], v[12:13] neg_lo:[0,1] neg_hi:[0,1]
	v_pk_add_f32 v[0:1], v[0:1], v[12:13]
	v_sub_f32_e32 v6, v10, v26
	v_add_f32_e32 v11, v21, v20
	v_add_f32_e32 v10, v10, v26
	global_store_dwordx2 v[14:15], v[0:1], off
	global_store_dwordx2 v[4:5], v[10:11], off
	v_pk_add_f32 v[0:1], v[18:19], v[8:9]
	v_pk_add_f32 v[16:17], v[18:19], v[8:9] neg_lo:[0,1] neg_hi:[0,1]
	global_store_dwordx2 v[38:39], v[0:1], off
	global_store_dwordx2 v[40:41], v[22:23], off
	;; [unrolled: 1-line block ×4, first 2 shown]
.LBB0_19:
	s_endpgm
	.section	.rodata,"a",@progbits
	.p2align	6, 0x0
	.amdhsa_kernel fft_rtc_back_len360_factors_10_6_6_wgs_240_tpt_60_halfLds_sp_op_CI_CI_sbrr_dirReg
		.amdhsa_group_segment_fixed_size 0
		.amdhsa_private_segment_fixed_size 0
		.amdhsa_kernarg_size 104
		.amdhsa_user_sgpr_count 2
		.amdhsa_user_sgpr_dispatch_ptr 0
		.amdhsa_user_sgpr_queue_ptr 0
		.amdhsa_user_sgpr_kernarg_segment_ptr 1
		.amdhsa_user_sgpr_dispatch_id 0
		.amdhsa_user_sgpr_kernarg_preload_length 0
		.amdhsa_user_sgpr_kernarg_preload_offset 0
		.amdhsa_user_sgpr_private_segment_size 0
		.amdhsa_uses_dynamic_stack 0
		.amdhsa_enable_private_segment 0
		.amdhsa_system_sgpr_workgroup_id_x 1
		.amdhsa_system_sgpr_workgroup_id_y 0
		.amdhsa_system_sgpr_workgroup_id_z 0
		.amdhsa_system_sgpr_workgroup_info 0
		.amdhsa_system_vgpr_workitem_id 0
		.amdhsa_next_free_vgpr 60
		.amdhsa_next_free_sgpr 32
		.amdhsa_accum_offset 60
		.amdhsa_reserve_vcc 1
		.amdhsa_float_round_mode_32 0
		.amdhsa_float_round_mode_16_64 0
		.amdhsa_float_denorm_mode_32 3
		.amdhsa_float_denorm_mode_16_64 3
		.amdhsa_dx10_clamp 1
		.amdhsa_ieee_mode 1
		.amdhsa_fp16_overflow 0
		.amdhsa_tg_split 0
		.amdhsa_exception_fp_ieee_invalid_op 0
		.amdhsa_exception_fp_denorm_src 0
		.amdhsa_exception_fp_ieee_div_zero 0
		.amdhsa_exception_fp_ieee_overflow 0
		.amdhsa_exception_fp_ieee_underflow 0
		.amdhsa_exception_fp_ieee_inexact 0
		.amdhsa_exception_int_div_zero 0
	.end_amdhsa_kernel
	.text
.Lfunc_end0:
	.size	fft_rtc_back_len360_factors_10_6_6_wgs_240_tpt_60_halfLds_sp_op_CI_CI_sbrr_dirReg, .Lfunc_end0-fft_rtc_back_len360_factors_10_6_6_wgs_240_tpt_60_halfLds_sp_op_CI_CI_sbrr_dirReg
                                        ; -- End function
	.section	.AMDGPU.csdata,"",@progbits
; Kernel info:
; codeLenInByte = 4712
; NumSgprs: 38
; NumVgprs: 60
; NumAgprs: 0
; TotalNumVgprs: 60
; ScratchSize: 0
; MemoryBound: 0
; FloatMode: 240
; IeeeMode: 1
; LDSByteSize: 0 bytes/workgroup (compile time only)
; SGPRBlocks: 4
; VGPRBlocks: 7
; NumSGPRsForWavesPerEU: 38
; NumVGPRsForWavesPerEU: 60
; AccumOffset: 60
; Occupancy: 8
; WaveLimiterHint : 1
; COMPUTE_PGM_RSRC2:SCRATCH_EN: 0
; COMPUTE_PGM_RSRC2:USER_SGPR: 2
; COMPUTE_PGM_RSRC2:TRAP_HANDLER: 0
; COMPUTE_PGM_RSRC2:TGID_X_EN: 1
; COMPUTE_PGM_RSRC2:TGID_Y_EN: 0
; COMPUTE_PGM_RSRC2:TGID_Z_EN: 0
; COMPUTE_PGM_RSRC2:TIDIG_COMP_CNT: 0
; COMPUTE_PGM_RSRC3_GFX90A:ACCUM_OFFSET: 14
; COMPUTE_PGM_RSRC3_GFX90A:TG_SPLIT: 0
	.text
	.p2alignl 6, 3212836864
	.fill 256, 4, 3212836864
	.type	__hip_cuid_91c8420c96e92f39,@object ; @__hip_cuid_91c8420c96e92f39
	.section	.bss,"aw",@nobits
	.globl	__hip_cuid_91c8420c96e92f39
__hip_cuid_91c8420c96e92f39:
	.byte	0                               ; 0x0
	.size	__hip_cuid_91c8420c96e92f39, 1

	.ident	"AMD clang version 19.0.0git (https://github.com/RadeonOpenCompute/llvm-project roc-6.4.0 25133 c7fe45cf4b819c5991fe208aaa96edf142730f1d)"
	.section	".note.GNU-stack","",@progbits
	.addrsig
	.addrsig_sym __hip_cuid_91c8420c96e92f39
	.amdgpu_metadata
---
amdhsa.kernels:
  - .agpr_count:     0
    .args:
      - .actual_access:  read_only
        .address_space:  global
        .offset:         0
        .size:           8
        .value_kind:     global_buffer
      - .offset:         8
        .size:           8
        .value_kind:     by_value
      - .actual_access:  read_only
        .address_space:  global
        .offset:         16
        .size:           8
        .value_kind:     global_buffer
      - .actual_access:  read_only
        .address_space:  global
        .offset:         24
        .size:           8
        .value_kind:     global_buffer
      - .actual_access:  read_only
        .address_space:  global
        .offset:         32
        .size:           8
        .value_kind:     global_buffer
      - .offset:         40
        .size:           8
        .value_kind:     by_value
      - .actual_access:  read_only
        .address_space:  global
        .offset:         48
        .size:           8
        .value_kind:     global_buffer
      - .actual_access:  read_only
        .address_space:  global
        .offset:         56
        .size:           8
        .value_kind:     global_buffer
      - .offset:         64
        .size:           4
        .value_kind:     by_value
      - .actual_access:  read_only
        .address_space:  global
        .offset:         72
        .size:           8
        .value_kind:     global_buffer
      - .actual_access:  read_only
        .address_space:  global
        .offset:         80
        .size:           8
        .value_kind:     global_buffer
      - .actual_access:  read_only
        .address_space:  global
        .offset:         88
        .size:           8
        .value_kind:     global_buffer
      - .actual_access:  write_only
        .address_space:  global
        .offset:         96
        .size:           8
        .value_kind:     global_buffer
    .group_segment_fixed_size: 0
    .kernarg_segment_align: 8
    .kernarg_segment_size: 104
    .language:       OpenCL C
    .language_version:
      - 2
      - 0
    .max_flat_workgroup_size: 240
    .name:           fft_rtc_back_len360_factors_10_6_6_wgs_240_tpt_60_halfLds_sp_op_CI_CI_sbrr_dirReg
    .private_segment_fixed_size: 0
    .sgpr_count:     38
    .sgpr_spill_count: 0
    .symbol:         fft_rtc_back_len360_factors_10_6_6_wgs_240_tpt_60_halfLds_sp_op_CI_CI_sbrr_dirReg.kd
    .uniform_work_group_size: 1
    .uses_dynamic_stack: false
    .vgpr_count:     60
    .vgpr_spill_count: 0
    .wavefront_size: 64
amdhsa.target:   amdgcn-amd-amdhsa--gfx950
amdhsa.version:
  - 1
  - 2
...

	.end_amdgpu_metadata
